;; amdgpu-corpus repo=ROCm/rocFFT kind=compiled arch=gfx950 opt=O3
	.text
	.amdgcn_target "amdgcn-amd-amdhsa--gfx950"
	.amdhsa_code_object_version 6
	.protected	bluestein_single_back_len13_dim1_sp_op_CI_CI ; -- Begin function bluestein_single_back_len13_dim1_sp_op_CI_CI
	.globl	bluestein_single_back_len13_dim1_sp_op_CI_CI
	.p2align	8
	.type	bluestein_single_back_len13_dim1_sp_op_CI_CI,@function
bluestein_single_back_len13_dim1_sp_op_CI_CI: ; @bluestein_single_back_len13_dim1_sp_op_CI_CI
; %bb.0:
	s_load_dwordx4 s[4:7], s[0:1], 0x28
	v_lshl_or_b32 v4, s2, 6, v0
	v_mov_b32_e32 v5, 0
	s_waitcnt lgkmcnt(0)
	v_cmp_gt_u64_e32 vcc, s[4:5], v[4:5]
	s_and_saveexec_b64 s[2:3], vcc
	s_cbranch_execz .LBB0_2
; %bb.1:
	s_load_dwordx4 s[20:23], s[0:1], 0x18
	s_load_dwordx2 s[2:3], s[0:1], 0x0
	v_mov_b32_e32 v2, s6
	v_mov_b32_e32 v3, s7
	;; [unrolled: 1-line block ×3, first 2 shown]
	s_waitcnt lgkmcnt(0)
	s_load_dwordx4 s[24:27], s[20:21], 0x0
	v_mul_u32_u24_e32 v5, 0x68, v0
	v_mov_b32_e32 v105, 0x50
	v_mov_b32_e32 v102, 0x58
	;; [unrolled: 1-line block ×3, first 2 shown]
	s_waitcnt lgkmcnt(0)
	v_mad_u64_u32 v[6:7], s[4:5], s26, v4, 0
	v_mov_b32_e32 v8, v7
	v_mad_u64_u32 v[8:9], s[4:5], s27, v4, v[8:9]
	v_mov_b32_e32 v7, v8
	v_lshl_add_u64 v[2:3], v[6:7], 3, v[2:3]
	v_lshl_add_u64 v[8:9], s[24:25], 3, v[2:3]
	v_mad_u64_u32 v[12:13], s[4:5], s24, 24, v[2:3]
	global_load_dwordx2 v[6:7], v[2:3], off
	v_mov_b32_e32 v14, v13
	global_load_dwordx2 v[8:9], v[8:9], off
	v_mad_u64_u32 v[14:15], s[4:5], s25, 24, v[14:15]
	v_lshl_add_u64 v[10:11], s[24:25], 4, v[2:3]
	global_load_dwordx2 v[10:11], v[10:11], off
	v_mov_b32_e32 v13, v14
	global_load_dwordx2 v[12:13], v[12:13], off
	s_lshl_b64 s[4:5], s[24:25], 5
	v_lshl_add_u64 v[14:15], v[2:3], 0, s[4:5]
	v_mad_u64_u32 v[16:17], s[4:5], s24, 40, v[2:3]
	v_mov_b32_e32 v18, v17
	v_mad_u64_u32 v[18:19], s[4:5], s25, 40, v[18:19]
	v_mov_b32_e32 v17, v18
	global_load_dwordx2 v[18:19], v[16:17], off
	global_load_dwordx2 v[20:21], v[14:15], off
	v_mad_u64_u32 v[14:15], s[4:5], s24, 48, v[2:3]
	v_mad_u64_u32 v[16:17], s[4:5], s24, 56, v[2:3]
	v_mov_b32_e32 v22, v15
	v_mov_b32_e32 v24, v17
	v_mad_u64_u32 v[22:23], s[4:5], s25, 48, v[22:23]
	v_mad_u64_u32 v[24:25], s[4:5], s25, 56, v[24:25]
	v_mov_b32_e32 v15, v22
	v_mov_b32_e32 v17, v24
	global_load_dwordx2 v[22:23], v[14:15], off
	global_load_dwordx2 v[24:25], v[16:17], off
	s_lshl_b64 s[28:29], s[24:25], 6
	s_mul_i32 s27, s25, 0x48
	v_lshl_add_u64 v[0:1], v[2:3], 0, s[28:29]
	v_mad_u64_u32 v[14:15], s[28:29], s24, v103, v[2:3]
	v_add_u32_e32 v15, s27, v15
	s_load_dwordx16 s[4:19], s[2:3], 0x0
	s_mul_i32 s27, s25, 0x50
	s_load_dwordx4 s[20:23], s[22:23], 0x0
	global_load_dwordx2 v[16:17], v[14:15], off
	global_load_dwordx2 v[26:27], v[0:1], off
	v_mad_u64_u32 v[0:1], s[34:35], s24, v105, v[2:3]
	s_mul_i32 s29, s25, 0x58
	v_mad_u64_u32 v[14:15], s[34:35], s24, v102, v[2:3]
	v_add_u32_e32 v1, s27, v1
	v_add_u32_e32 v15, s29, v15
	global_load_dwordx2 v[28:29], v[0:1], off
	global_load_dwordx2 v[30:31], v[14:15], off
	s_mul_i32 s31, s25, 0x60
	v_mad_u64_u32 v[2:3], s[24:25], s24, v104, v[2:3]
	v_add_u32_e32 v3, s31, v3
	global_load_dwordx2 v[0:1], v[2:3], off
	s_waitcnt lgkmcnt(0)
	s_mov_b32 s26, s7
	s_mov_b32 s28, s11
	;; [unrolled: 1-line block ×4, first 2 shown]
	s_load_dwordx16 s[36:51], s[2:3], 0x40
	s_mov_b32 s72, 0xbeedf032
	s_mov_b32 s73, 0x3f62ad3f
	;; [unrolled: 1-line block ×19, first 2 shown]
	s_load_dwordx2 s[0:1], s[0:1], 0x38
	s_waitcnt vmcnt(12)
	v_pk_mul_f32 v[2:3], v[6:7], s[4:5] op_sel_hi:[1,0]
	v_pk_mul_f32 v[6:7], v[6:7], s[4:5] op_sel:[0,1]
	s_waitcnt vmcnt(11)
	v_pk_mul_f32 v[14:15], v[8:9], s[6:7] op_sel_hi:[1,0]
	v_pk_mul_f32 v[8:9], v[8:9], s[26:27] op_sel_hi:[1,0]
	v_mov_b32_e32 v32, v7
	v_sub_f32_e32 v7, v3, v6
	v_mov_b32_e32 v33, v9
	v_mov_b32_e32 v3, v14
	v_pk_add_f32 v[2:3], v[2:3], v[32:33]
	s_waitcnt vmcnt(10)
	v_pk_mul_f32 v[34:35], v[10:11], s[8:9] op_sel_hi:[1,0]
	v_pk_mul_f32 v[10:11], v[10:11], s[30:31] op_sel_hi:[1,0]
	v_sub_f32_e32 v9, v15, v8
	v_mov_b32_e32 v6, v2
	v_mov_b32_e32 v8, v3
	s_waitcnt vmcnt(9)
	v_pk_mul_f32 v[2:3], v[12:13], s[10:11] op_sel_hi:[1,0]
	v_pk_mul_f32 v[12:13], v[12:13], s[28:29] op_sel_hi:[1,0]
	v_mov_b32_e32 v14, v11
	ds_write2_b64 v5, v[6:7], v[8:9] offset1:1
	v_mov_b32_e32 v15, v13
	v_mov_b32_e32 v6, v34
	;; [unrolled: 1-line block ×3, first 2 shown]
	v_pk_add_f32 v[6:7], v[6:7], v[14:15]
	v_sub_f32_e32 v3, v3, v12
	v_sub_f32_e32 v9, v35, v10
	v_mov_b32_e32 v8, v6
	v_mov_b32_e32 v2, v7
	ds_write2_b64 v5, v[8:9], v[2:3] offset0:2 offset1:3
	s_waitcnt vmcnt(8)
	v_pk_mul_f32 v[8:9], v[18:19], s[24:25] op_sel_hi:[1,0]
	s_mov_b32 s24, s13
	v_pk_mul_f32 v[2:3], v[18:19], s[14:15] op_sel_hi:[1,0]
	s_waitcnt vmcnt(7)
	v_pk_mul_f32 v[6:7], v[20:21], s[12:13] op_sel_hi:[1,0]
	v_pk_mul_f32 v[10:11], v[20:21], s[24:25] op_sel_hi:[1,0]
	v_mov_b32_e32 v13, v9
	v_mov_b32_e32 v12, v11
	;; [unrolled: 1-line block ×4, first 2 shown]
	v_pk_add_f32 v[12:13], v[14:15], v[12:13]
	s_mov_b32 s24, s17
	v_sub_f32_e32 v3, v3, v8
	v_sub_f32_e32 v7, v7, v10
	v_mov_b32_e32 v6, v12
	v_mov_b32_e32 v2, v13
	s_waitcnt vmcnt(6)
	v_pk_mul_f32 v[8:9], v[22:23], s[24:25] op_sel_hi:[1,0]
	s_mov_b32 s24, s19
	ds_write2_b64 v5, v[6:7], v[2:3] offset0:4 offset1:5
	v_pk_mul_f32 v[2:3], v[22:23], s[16:17] op_sel_hi:[1,0]
	s_waitcnt vmcnt(5)
	v_pk_mul_f32 v[6:7], v[24:25], s[18:19] op_sel_hi:[1,0]
	v_pk_mul_f32 v[10:11], v[24:25], s[24:25] op_sel_hi:[1,0]
	v_mov_b32_e32 v12, v9
	v_mov_b32_e32 v13, v11
	;; [unrolled: 1-line block ×4, first 2 shown]
	v_pk_add_f32 v[12:13], v[14:15], v[12:13]
	v_sub_f32_e32 v7, v7, v10
	v_sub_f32_e32 v3, v3, v8
	v_mov_b32_e32 v2, v12
	v_mov_b32_e32 v6, v13
	s_waitcnt lgkmcnt(0)
	s_mov_b32 s24, s39
	ds_write2_b64 v5, v[2:3], v[6:7] offset0:6 offset1:7
	s_waitcnt vmcnt(4)
	v_pk_mul_f32 v[2:3], v[16:17], s[38:39] op_sel_hi:[1,0]
	s_waitcnt vmcnt(3)
	v_pk_mul_f32 v[6:7], v[26:27], s[36:37] op_sel_hi:[1,0]
	v_pk_mul_f32 v[8:9], v[16:17], s[24:25] op_sel_hi:[1,0]
	v_pk_mul_f32 v[10:11], v[26:27], s[36:37] op_sel:[0,1]
	v_mov_b32_e32 v13, v9
	v_mov_b32_e32 v12, v11
	;; [unrolled: 1-line block ×4, first 2 shown]
	v_pk_add_f32 v[12:13], v[14:15], v[12:13]
	s_mov_b32 s24, s41
	v_sub_f32_e32 v3, v3, v8
	v_sub_f32_e32 v7, v7, v10
	v_mov_b32_e32 v6, v12
	v_mov_b32_e32 v2, v13
	s_waitcnt vmcnt(2)
	v_pk_mul_f32 v[8:9], v[28:29], s[24:25] op_sel_hi:[1,0]
	s_mov_b32 s24, s43
	ds_write2_b64 v5, v[6:7], v[2:3] offset0:8 offset1:9
	v_pk_mul_f32 v[2:3], v[28:29], s[40:41] op_sel_hi:[1,0]
	s_waitcnt vmcnt(1)
	v_pk_mul_f32 v[6:7], v[30:31], s[42:43] op_sel_hi:[1,0]
	v_pk_mul_f32 v[10:11], v[30:31], s[24:25] op_sel_hi:[1,0]
	v_mov_b32_e32 v12, v9
	v_mov_b32_e32 v13, v11
	;; [unrolled: 1-line block ×4, first 2 shown]
	v_pk_add_f32 v[12:13], v[14:15], v[12:13]
	v_sub_f32_e32 v7, v7, v10
	v_sub_f32_e32 v3, v3, v8
	v_mov_b32_e32 v2, v12
	v_mov_b32_e32 v6, v13
	ds_write2_b64 v5, v[2:3], v[6:7] offset0:10 offset1:11
	s_waitcnt vmcnt(0)
	v_mul_f32_e32 v2, s45, v1
	v_fmac_f32_e32 v2, s44, v0
	v_mul_f32_e32 v0, s45, v0
	v_fma_f32 v3, v1, s44, -v0
	ds_write_b64 v5, v[2:3] offset:96
	s_waitcnt lgkmcnt(0)
	; wave barrier
	s_waitcnt lgkmcnt(0)
	ds_read2_b64 v[6:9], v5 offset0:2 offset1:3
	ds_read2_b64 v[10:13], v5 offset0:8 offset1:9
	;; [unrolled: 1-line block ×5, first 2 shown]
	ds_read_b64 v[26:27], v5 offset:96
	ds_read2_b64 v[0:3], v5 offset1:1
	s_mov_b32 s24, s73
	s_mov_b32 s25, s72
	s_waitcnt lgkmcnt(4)
	v_pk_add_f32 v[50:51], v[14:15], v[8:9]
	v_pk_add_f32 v[30:31], v[8:9], v[14:15] neg_lo:[0,1] neg_hi:[0,1]
	s_waitcnt lgkmcnt(0)
	v_pk_add_f32 v[66:67], v[26:27], v[2:3]
	v_pk_add_f32 v[38:39], v[2:3], v[26:27] neg_lo:[0,1] neg_hi:[0,1]
	v_pk_add_f32 v[2:3], v[0:1], v[2:3]
	v_pk_add_f32 v[58:59], v[16:17], v[6:7]
	;; [unrolled: 1-line block ×3, first 2 shown]
	v_pk_add_f32 v[28:29], v[6:7], v[16:17] neg_lo:[0,1] neg_hi:[0,1]
	v_pk_add_f32 v[2:3], v[2:3], v[8:9]
	v_pk_add_f32 v[46:47], v[10:11], v[20:21]
	;; [unrolled: 1-line block ×3, first 2 shown]
	v_pk_add_f32 v[34:35], v[20:21], v[10:11] neg_lo:[0,1] neg_hi:[0,1]
	v_pk_add_f32 v[2:3], v[2:3], v[20:21]
	s_mov_b32 s26, 0xbf52af12
	v_pk_add_f32 v[2:3], v[2:3], v[22:23]
	s_mov_b32 s27, 0x3f116cb1
	;; [unrolled: 2-line block ×4, first 2 shown]
	v_pk_add_f32 v[2:3], v[2:3], v[12:13]
	v_pk_add_f32 v[48:49], v[12:13], v[18:19]
	;; [unrolled: 1-line block ×3, first 2 shown]
	v_pk_add_f32 v[32:33], v[18:19], v[12:13] neg_lo:[0,1] neg_hi:[0,1]
	v_pk_add_f32 v[2:3], v[2:3], v[16:17]
	v_pk_add_f32 v[44:45], v[24:25], v[22:23]
	;; [unrolled: 1-line block ×3, first 2 shown]
	v_mov_b32_e32 v3, v67
	v_mov_b32_e32 v67, v38
	;; [unrolled: 1-line block ×3, first 2 shown]
	v_pk_mul_f32 v[8:9], v[66:67], s[24:25]
	v_pk_add_f32 v[36:37], v[22:23], v[24:25] neg_lo:[0,1] neg_hi:[0,1]
	v_pk_fma_f32 v[10:11], v[2:3], s[72:73], v[8:9] neg_lo:[1,0,0] neg_hi:[1,0,0]
	v_pk_fma_f32 v[6:7], v[2:3], s[72:73], v[8:9]
	s_mov_b32 s24, 0xbf6f5d39
	v_mov_b32_e32 v11, v7
	v_pk_add_f32 v[16:17], v[0:1], v[10:11]
	v_mov_b32_e32 v11, v59
	v_mov_b32_e32 v59, v28
	v_mov_b32_e32 v10, v29
	v_pk_mul_f32 v[14:15], v[58:59], s[56:57]
	s_mov_b32 s25, 0xbeb58ec6
	v_pk_fma_f32 v[18:19], v[10:11], s[26:27], v[14:15] neg_lo:[1,0,0] neg_hi:[1,0,0]
	v_pk_fma_f32 v[12:13], v[10:11], s[26:27], v[14:15]
	s_mov_b32 s52, s25
	v_mov_b32_e32 v19, v13
	v_pk_add_f32 v[22:23], v[18:19], v[16:17]
	v_mov_b32_e32 v17, v51
	v_mov_b32_e32 v51, v30
	v_mov_b32_e32 v16, v31
	v_pk_mul_f32 v[20:21], v[50:51], s[62:63]
	s_mov_b32 s53, s24
	;; [unrolled: 10-line block ×3, first 2 shown]
	v_pk_fma_f32 v[30:31], v[22:23], s[24:25], v[26:27] neg_lo:[1,0,0] neg_hi:[1,0,0]
	v_pk_fma_f32 v[24:25], v[22:23], s[24:25], v[26:27]
	s_mov_b32 s54, s29
	v_mov_b32_e32 v31, v25
	v_pk_add_f32 v[38:39], v[30:31], v[28:29]
	v_mov_b32_e32 v29, v47
	v_mov_b32_e32 v47, v34
	s_mov_b32 s55, s28
	v_mov_b32_e32 v28, v35
	v_pk_mul_f32 v[32:33], v[46:47], s[54:55]
	s_mov_b32 s30, 0xbe750f2a
	v_pk_fma_f32 v[34:35], v[28:29], s[28:29], v[32:33] neg_lo:[1,0,0] neg_hi:[1,0,0]
	v_pk_fma_f32 v[30:31], v[28:29], s[28:29], v[32:33]
	s_mov_b32 s31, 0xbf788fa5
	v_mov_b32_e32 v35, v31
	v_pk_add_f32 v[42:43], v[34:35], v[38:39]
	v_mov_b32_e32 v35, v45
	v_mov_b32_e32 v45, v36
	s_mov_b32 s58, s31
	s_mov_b32 s59, s30
	v_mov_b32_e32 v34, v37
	v_pk_mul_f32 v[38:39], v[44:45], s[58:59]
	v_pk_mul_f32 v[54:55], v[58:59], s[52:53]
	v_pk_fma_f32 v[52:53], v[34:35], s[30:31], v[38:39] neg_lo:[1,0,0] neg_hi:[1,0,0]
	v_pk_fma_f32 v[36:37], v[34:35], s[30:31], v[38:39]
	v_pk_fma_f32 v[62:63], v[10:11], s[24:25], v[54:55] neg_lo:[1,0,0] neg_hi:[1,0,0]
	v_mov_b32_e32 v53, v37
	v_pk_add_f32 v[42:43], v[52:53], v[42:43]
	v_pk_mul_f32 v[52:53], v[66:67], s[56:57]
	ds_write2_b64 v5, v[40:41], v[42:43] offset1:1
	v_pk_fma_f32 v[60:61], v[2:3], s[26:27], v[52:53] neg_lo:[1,0,0] neg_hi:[1,0,0]
	v_pk_fma_f32 v[40:41], v[2:3], s[26:27], v[52:53]
	v_pk_fma_f32 v[42:43], v[10:11], s[24:25], v[54:55]
	v_mov_b32_e32 v61, v41
	v_mov_b32_e32 v63, v43
	v_pk_mul_f32 v[56:57], v[50:51], s[58:59]
	v_pk_add_f32 v[60:61], v[0:1], v[60:61]
	v_pk_fma_f32 v[64:65], v[16:17], s[30:31], v[56:57] neg_lo:[1,0,0] neg_hi:[1,0,0]
	v_pk_add_f32 v[62:63], v[62:63], v[60:61]
	v_pk_fma_f32 v[60:61], v[16:17], s[30:31], v[56:57]
	s_mov_b32 s66, s29
	v_mov_b32_e32 v65, v61
	s_mov_b32 s75, s29
	v_pk_mul_f32 v[68:69], v[48:49], s[66:67]
	v_pk_add_f32 v[64:65], v[64:65], v[62:63]
	v_pk_fma_f32 v[70:71], v[22:23], s[74:75], v[68:69] neg_lo:[1,0,0] neg_hi:[1,0,0]
	v_pk_fma_f32 v[62:63], v[22:23], s[74:75], v[68:69]
	v_pk_mul_f32 v[80:81], v[66:67], s[62:63]
	v_mov_b32_e32 v71, v63
	v_pk_add_f32 v[72:73], v[70:71], v[64:65]
	v_pk_mul_f32 v[70:71], v[46:47], s[60:61]
	v_pk_fma_f32 v[84:85], v[2:3], s[34:35], v[80:81] neg_lo:[1,0,0] neg_hi:[1,0,0]
	v_pk_fma_f32 v[74:75], v[28:29], s[68:69], v[70:71] neg_lo:[1,0,0] neg_hi:[1,0,0]
	v_pk_fma_f32 v[64:65], v[28:29], s[68:69], v[70:71]
	v_pk_mul_f32 v[82:83], v[58:59], s[58:59]
	v_mov_b32_e32 v75, v65
	v_pk_add_f32 v[76:77], v[74:75], v[72:73]
	v_pk_mul_f32 v[74:75], v[44:45], s[64:65]
	v_pk_fma_f32 v[86:87], v[10:11], s[30:31], v[82:83] neg_lo:[1,0,0] neg_hi:[1,0,0]
	v_pk_fma_f32 v[78:79], v[34:35], s[70:71], v[74:75] neg_lo:[1,0,0] neg_hi:[1,0,0]
	v_pk_fma_f32 v[72:73], v[34:35], s[70:71], v[74:75]
	s_mov_b32 s76, s25
	v_mov_b32_e32 v79, v73
	v_pk_add_f32 v[100:101], v[78:79], v[76:77]
	v_pk_fma_f32 v[76:77], v[2:3], s[34:35], v[80:81]
	v_pk_fma_f32 v[78:79], v[10:11], s[30:31], v[82:83]
	v_mov_b32_e32 v85, v77
	v_mov_b32_e32 v87, v79
	v_pk_add_f32 v[84:85], v[0:1], v[84:85]
	s_mov_b32 s81, s25
	v_pk_mul_f32 v[90:91], v[50:51], s[76:77]
	v_pk_add_f32 v[86:87], v[86:87], v[84:85]
	v_pk_fma_f32 v[88:89], v[16:17], s[80:81], v[90:91] neg_lo:[1,0,0] neg_hi:[1,0,0]
	v_pk_fma_f32 v[84:85], v[16:17], s[80:81], v[90:91]
	v_pk_mul_f32 v[94:95], v[48:49], s[64:65]
	v_mov_b32_e32 v89, v85
	v_pk_add_f32 v[88:89], v[88:89], v[86:87]
	v_pk_fma_f32 v[92:93], v[22:23], s[70:71], v[94:95] neg_lo:[1,0,0] neg_hi:[1,0,0]
	v_pk_fma_f32 v[86:87], v[22:23], s[70:71], v[94:95]
	v_pk_mul_f32 v[96:97], v[46:47], s[56:57]
	v_mov_b32_e32 v93, v87
	;; [unrolled: 5-line block ×3, first 2 shown]
	v_pk_add_f32 v[106:107], v[98:99], v[92:93]
	v_pk_mul_f32 v[98:99], v[44:45], s[54:55]
	v_pk_fma_f32 v[112:113], v[10:11], s[74:75], v[110:111] neg_lo:[1,0,0] neg_hi:[1,0,0]
	v_pk_fma_f32 v[108:109], v[34:35], s[28:29], v[98:99] neg_lo:[1,0,0] neg_hi:[1,0,0]
	v_pk_fma_f32 v[92:93], v[34:35], s[28:29], v[98:99]
	v_pk_fma_f32 v[114:115], v[10:11], s[74:75], v[110:111]
	v_mov_b32_e32 v109, v93
	v_pk_add_f32 v[106:107], v[108:109], v[106:107]
	ds_write2_b64 v5, v[100:101], v[106:107] offset0:2 offset1:3
	v_pk_mul_f32 v[106:107], v[66:67], s[52:53]
	v_mov_b32_e32 v113, v115
	v_pk_fma_f32 v[108:109], v[2:3], s[24:25], v[106:107] neg_lo:[1,0,0] neg_hi:[1,0,0]
	v_pk_fma_f32 v[100:101], v[2:3], s[24:25], v[106:107]
	s_mov_b32 s66, s31
	v_mov_b32_e32 v109, v101
	v_pk_add_f32 v[108:109], v[0:1], v[108:109]
	s_mov_b32 s67, s78
	v_pk_add_f32 v[108:109], v[112:113], v[108:109]
	v_pk_mul_f32 v[112:113], v[50:51], s[64:65]
	s_mov_b32 s79, s31
	v_pk_fma_f32 v[116:117], v[16:17], s[70:71], v[112:113] neg_lo:[1,0,0] neg_hi:[1,0,0]
	v_pk_fma_f32 v[118:119], v[16:17], s[70:71], v[112:113]
	s_mov_b32 s76, 0x3f52af12
	v_mov_b32_e32 v117, v119
	v_pk_add_f32 v[108:109], v[116:117], v[108:109]
	v_pk_mul_f32 v[116:117], v[48:49], s[62:63]
	s_mov_b32 s62, s27
	v_pk_fma_f32 v[120:121], v[22:23], s[34:35], v[116:117] neg_lo:[1,0,0] neg_hi:[1,0,0]
	v_pk_fma_f32 v[122:123], v[22:23], s[34:35], v[116:117]
	s_mov_b32 s63, s76
	v_mov_b32_e32 v121, v123
	v_pk_add_f32 v[108:109], v[120:121], v[108:109]
	v_pk_mul_f32 v[120:121], v[46:47], s[66:67]
	s_mov_b32 s77, s27
	v_pk_fma_f32 v[124:125], v[28:29], s[78:79], v[120:121] neg_lo:[1,0,0] neg_hi:[1,0,0]
	v_pk_fma_f32 v[126:127], v[28:29], s[78:79], v[120:121]
	v_pk_mul_f32 v[136:137], v[58:59], s[60:61]
	v_mov_b32_e32 v125, v127
	v_pk_add_f32 v[108:109], v[124:125], v[108:109]
	v_pk_mul_f32 v[124:125], v[44:45], s[62:63]
	v_pk_fma_f32 v[138:139], v[10:11], s[68:69], v[136:137] neg_lo:[1,0,0] neg_hi:[1,0,0]
	v_pk_fma_f32 v[128:129], v[34:35], s[76:77], v[124:125] neg_lo:[1,0,0] neg_hi:[1,0,0]
	v_pk_fma_f32 v[130:131], v[34:35], s[76:77], v[124:125]
	v_pk_fma_f32 v[140:141], v[10:11], s[68:69], v[136:137]
	v_mov_b32_e32 v129, v131
	v_pk_add_f32 v[108:109], v[128:129], v[108:109]
	v_pk_mul_f32 v[128:129], v[66:67], s[54:55]
	v_mov_b32_e32 v139, v141
	v_pk_fma_f32 v[132:133], v[2:3], s[28:29], v[128:129] neg_lo:[1,0,0] neg_hi:[1,0,0]
	v_pk_fma_f32 v[134:135], v[2:3], s[28:29], v[128:129]
	v_pk_mul_f32 v[66:67], v[66:67], s[58:59]
	v_mov_b32_e32 v133, v135
	v_pk_add_f32 v[132:133], v[0:1], v[132:133]
	v_pk_mul_f32 v[58:59], v[58:59], s[64:65]
	v_pk_add_f32 v[132:133], v[138:139], v[132:133]
	v_pk_mul_f32 v[138:139], v[50:51], s[56:57]
	v_pk_fma_f32 v[158:159], v[10:11], s[70:71], v[58:59]
	v_pk_fma_f32 v[142:143], v[16:17], s[26:27], v[138:139] neg_lo:[1,0,0] neg_hi:[1,0,0]
	v_pk_fma_f32 v[144:145], v[16:17], s[26:27], v[138:139]
	v_pk_mul_f32 v[50:51], v[50:51], s[54:55]
	v_mov_b32_e32 v143, v145
	v_pk_add_f32 v[132:133], v[142:143], v[132:133]
	v_pk_mul_f32 v[142:143], v[48:49], s[66:67]
	v_pk_fma_f32 v[160:161], v[16:17], s[28:29], v[50:51]
	v_pk_fma_f32 v[146:147], v[22:23], s[78:79], v[142:143] neg_lo:[1,0,0] neg_hi:[1,0,0]
	v_pk_fma_f32 v[148:149], v[22:23], s[78:79], v[142:143]
	v_pk_mul_f32 v[48:49], v[48:49], s[62:63]
	v_mov_b32_e32 v147, v149
	;; [unrolled: 7-line block ×4, first 2 shown]
	v_pk_add_f32 v[132:133], v[154:155], v[132:133]
	ds_write2_b64 v5, v[108:109], v[132:133] offset0:4 offset1:5
	v_pk_fma_f32 v[108:109], v[2:3], s[30:31], v[66:67] neg_lo:[1,0,0] neg_hi:[1,0,0]
	v_pk_fma_f32 v[132:133], v[2:3], s[30:31], v[66:67]
	v_pk_fma_f32 v[154:155], v[10:11], s[70:71], v[58:59] neg_lo:[1,0,0] neg_hi:[1,0,0]
	v_mov_b32_e32 v109, v133
	v_mov_b32_e32 v155, v159
	v_pk_add_f32 v[108:109], v[0:1], v[108:109]
	v_pk_fma_f32 v[66:67], v[2:3], s[30:31], v[66:67] neg_lo:[0,0,1] neg_hi:[0,0,1]
	v_pk_add_f32 v[108:109], v[154:155], v[108:109]
	v_pk_fma_f32 v[154:155], v[16:17], s[28:29], v[50:51] neg_lo:[1,0,0] neg_hi:[1,0,0]
	v_pk_fma_f32 v[166:167], v[34:35], s[68:69], v[44:45]
	v_mov_b32_e32 v155, v161
	v_pk_add_f32 v[108:109], v[154:155], v[108:109]
	v_pk_fma_f32 v[154:155], v[22:23], s[76:77], v[48:49] neg_lo:[1,0,0] neg_hi:[1,0,0]
	v_mov_b32_e32 v133, v67
	v_mov_b32_e32 v155, v163
	v_pk_add_f32 v[108:109], v[154:155], v[108:109]
	v_pk_fma_f32 v[154:155], v[28:29], s[24:25], v[46:47] neg_lo:[1,0,0] neg_hi:[1,0,0]
	v_pk_fma_f32 v[58:59], v[10:11], s[70:71], v[58:59] neg_lo:[0,0,1] neg_hi:[0,0,1]
	v_mov_b32_e32 v155, v165
	v_pk_add_f32 v[108:109], v[154:155], v[108:109]
	v_pk_fma_f32 v[154:155], v[34:35], s[68:69], v[44:45] neg_lo:[1,0,0] neg_hi:[1,0,0]
	v_pk_fma_f32 v[44:45], v[34:35], s[68:69], v[44:45] neg_lo:[0,0,1] neg_hi:[0,0,1]
	v_mov_b32_e32 v155, v167
	v_mov_b32_e32 v159, v59
	v_pk_fma_f32 v[50:51], v[16:17], s[28:29], v[50:51] neg_lo:[0,0,1] neg_hi:[0,0,1]
	v_mov_b32_e32 v167, v45
	v_pk_add_f32 v[44:45], v[0:1], v[132:133]
	v_mov_b32_e32 v161, v51
	v_pk_fma_f32 v[48:49], v[22:23], s[76:77], v[48:49] neg_lo:[0,0,1] neg_hi:[0,0,1]
	v_pk_add_f32 v[44:45], v[158:159], v[44:45]
	v_mov_b32_e32 v163, v49
	v_pk_fma_f32 v[46:47], v[28:29], s[24:25], v[46:47] neg_lo:[0,0,1] neg_hi:[0,0,1]
	v_pk_add_f32 v[44:45], v[160:161], v[44:45]
	v_mov_b32_e32 v165, v47
	v_pk_add_f32 v[44:45], v[162:163], v[44:45]
	v_pk_add_f32 v[108:109], v[154:155], v[108:109]
	;; [unrolled: 1-line block ×3, first 2 shown]
	v_pk_fma_f32 v[46:47], v[2:3], s[24:25], v[106:107] neg_lo:[0,0,1] neg_hi:[0,0,1]
	v_pk_add_f32 v[44:45], v[166:167], v[44:45]
	ds_write2_b64 v5, v[108:109], v[44:45] offset0:6 offset1:7
	v_pk_fma_f32 v[44:45], v[2:3], s[28:29], v[128:129] neg_lo:[0,0,1] neg_hi:[0,0,1]
	v_mov_b32_e32 v101, v47
	v_mov_b32_e32 v135, v45
	v_pk_fma_f32 v[44:45], v[10:11], s[68:69], v[136:137] neg_lo:[0,0,1] neg_hi:[0,0,1]
	v_pk_fma_f32 v[46:47], v[10:11], s[74:75], v[110:111] neg_lo:[0,0,1] neg_hi:[0,0,1]
	v_mov_b32_e32 v141, v45
	v_pk_fma_f32 v[44:45], v[16:17], s[26:27], v[138:139] neg_lo:[0,0,1] neg_hi:[0,0,1]
	v_mov_b32_e32 v115, v47
	v_pk_fma_f32 v[46:47], v[16:17], s[70:71], v[112:113] neg_lo:[0,0,1] neg_hi:[0,0,1]
	v_mov_b32_e32 v145, v45
	v_pk_fma_f32 v[44:45], v[22:23], s[78:79], v[142:143] neg_lo:[0,0,1] neg_hi:[0,0,1]
	v_mov_b32_e32 v119, v47
	v_pk_fma_f32 v[46:47], v[22:23], s[34:35], v[116:117] neg_lo:[0,0,1] neg_hi:[0,0,1]
	v_mov_b32_e32 v149, v45
	v_pk_fma_f32 v[44:45], v[28:29], s[70:71], v[146:147] neg_lo:[0,0,1] neg_hi:[0,0,1]
	v_mov_b32_e32 v123, v47
	v_pk_fma_f32 v[46:47], v[28:29], s[78:79], v[120:121] neg_lo:[0,0,1] neg_hi:[0,0,1]
	v_mov_b32_e32 v153, v45
	v_pk_fma_f32 v[44:45], v[34:35], s[24:25], v[150:151] neg_lo:[0,0,1] neg_hi:[0,0,1]
	v_mov_b32_e32 v127, v47
	v_pk_fma_f32 v[46:47], v[34:35], s[76:77], v[124:125] neg_lo:[0,0,1] neg_hi:[0,0,1]
	v_mov_b32_e32 v157, v45
	v_pk_add_f32 v[44:45], v[0:1], v[134:135]
	v_mov_b32_e32 v131, v47
	v_pk_add_f32 v[46:47], v[0:1], v[100:101]
	v_pk_add_f32 v[44:45], v[140:141], v[44:45]
	;; [unrolled: 1-line block ×11, first 2 shown]
	ds_write2_b64 v5, v[44:45], v[46:47] offset0:8 offset1:9
	v_pk_fma_f32 v[44:45], v[2:3], s[34:35], v[80:81] neg_lo:[0,0,1] neg_hi:[0,0,1]
	v_pk_fma_f32 v[46:47], v[2:3], s[26:27], v[52:53] neg_lo:[0,0,1] neg_hi:[0,0,1]
	v_mov_b32_e32 v77, v45
	v_pk_fma_f32 v[44:45], v[10:11], s[30:31], v[82:83] neg_lo:[0,0,1] neg_hi:[0,0,1]
	v_pk_fma_f32 v[2:3], v[2:3], s[72:73], v[8:9] neg_lo:[0,0,1] neg_hi:[0,0,1]
	v_mov_b32_e32 v79, v45
	v_pk_fma_f32 v[44:45], v[16:17], s[80:81], v[90:91] neg_lo:[0,0,1] neg_hi:[0,0,1]
	v_mov_b32_e32 v41, v47
	v_mov_b32_e32 v85, v45
	v_pk_fma_f32 v[44:45], v[22:23], s[70:71], v[94:95] neg_lo:[0,0,1] neg_hi:[0,0,1]
	v_pk_fma_f32 v[46:47], v[10:11], s[24:25], v[54:55] neg_lo:[0,0,1] neg_hi:[0,0,1]
	v_mov_b32_e32 v87, v45
	v_pk_fma_f32 v[44:45], v[28:29], s[26:27], v[96:97] neg_lo:[0,0,1] neg_hi:[0,0,1]
	v_mov_b32_e32 v7, v3
	v_mov_b32_e32 v89, v45
	v_pk_fma_f32 v[44:45], v[34:35], s[28:29], v[98:99] neg_lo:[0,0,1] neg_hi:[0,0,1]
	v_pk_fma_f32 v[2:3], v[10:11], s[26:27], v[14:15] neg_lo:[0,0,1] neg_hi:[0,0,1]
	v_mov_b32_e32 v93, v45
	v_pk_add_f32 v[44:45], v[0:1], v[76:77]
	v_mov_b32_e32 v43, v47
	v_pk_fma_f32 v[46:47], v[16:17], s[30:31], v[56:57] neg_lo:[0,0,1] neg_hi:[0,0,1]
	v_pk_add_f32 v[40:41], v[0:1], v[40:41]
	v_pk_add_f32 v[0:1], v[0:1], v[6:7]
	v_mov_b32_e32 v13, v3
	v_pk_fma_f32 v[2:3], v[16:17], s[34:35], v[20:21] neg_lo:[0,0,1] neg_hi:[0,0,1]
	v_pk_add_f32 v[44:45], v[78:79], v[44:45]
	v_mov_b32_e32 v61, v47
	v_pk_fma_f32 v[46:47], v[22:23], s[74:75], v[68:69] neg_lo:[0,0,1] neg_hi:[0,0,1]
	v_pk_add_f32 v[40:41], v[42:43], v[40:41]
	v_pk_add_f32 v[0:1], v[12:13], v[0:1]
	v_mov_b32_e32 v19, v3
	v_pk_fma_f32 v[2:3], v[22:23], s[24:25], v[26:27] neg_lo:[0,0,1] neg_hi:[0,0,1]
	;; [unrolled: 7-line block ×4, first 2 shown]
	v_pk_add_f32 v[44:45], v[88:89], v[44:45]
	v_mov_b32_e32 v73, v47
	v_pk_add_f32 v[40:41], v[64:65], v[40:41]
	v_pk_add_f32 v[0:1], v[30:31], v[0:1]
	v_mov_b32_e32 v37, v3
	v_pk_add_f32 v[44:45], v[92:93], v[44:45]
	v_pk_add_f32 v[40:41], v[72:73], v[40:41]
	;; [unrolled: 1-line block ×3, first 2 shown]
	ds_write2_b64 v5, v[44:45], v[40:41] offset0:10 offset1:11
	ds_write_b64 v5, v[0:1] offset:96
	s_waitcnt lgkmcnt(0)
	; wave barrier
	s_waitcnt lgkmcnt(0)
	ds_read2_b64 v[0:3], v5 offset1:1
	ds_read2_b64 v[6:9], v5 offset0:2 offset1:3
	s_load_dwordx16 s[52:67], s[2:3], 0x80
	s_waitcnt lgkmcnt(0)
	v_pk_mul_f32 v[12:13], v[0:1], s[46:47] op_sel_hi:[1,0]
	s_mov_b32 s46, s49
	v_pk_mul_f32 v[10:11], v[2:3], s[48:49] op_sel_hi:[1,0]
	v_pk_mul_f32 v[2:3], v[2:3], s[46:47] op_sel_hi:[1,0]
	s_mov_b32 s46, s47
	v_pk_mul_f32 v[0:1], v[0:1], s[46:47] op_sel_hi:[1,0]
	v_sub_f32_e32 v14, v10, v3
	v_sub_f32_e32 v12, v12, v1
	v_mov_b32_e32 v1, v2
	v_mov_b32_e32 v10, v13
	v_pk_add_f32 v[0:1], v[10:11], v[0:1]
	s_mov_b32 s46, s51
	v_mov_b32_e32 v13, v0
	v_mov_b32_e32 v15, v1
	v_pk_mul_f32 v[0:1], v[8:9], s[52:53] op_sel_hi:[1,0]
	v_pk_mul_f32 v[2:3], v[6:7], s[50:51] op_sel_hi:[1,0]
	v_pk_mul_f32 v[8:9], v[8:9], s[52:53] op_sel:[0,1]
	v_pk_mul_f32 v[6:7], v[6:7], s[46:47] op_sel_hi:[1,0]
	ds_write2_b64 v5, v[12:13], v[14:15] offset1:1
	v_sub_f32_e32 v10, v2, v7
	v_sub_f32_e32 v12, v0, v9
	v_mov_b32_e32 v7, v8
	v_mov_b32_e32 v0, v3
	v_pk_add_f32 v[6:7], v[0:1], v[6:7]
	ds_read2_b64 v[0:3], v5 offset0:4 offset1:5
	v_mov_b32_e32 v11, v6
	v_mov_b32_e32 v13, v7
	ds_read2_b64 v[6:9], v5 offset0:6 offset1:7
	s_mov_b32 s46, s55
	ds_write2_b64 v5, v[10:11], v[12:13] offset0:2 offset1:3
	s_waitcnt lgkmcnt(2)
	v_pk_mul_f32 v[10:11], v[0:1], s[54:55] op_sel_hi:[1,0]
	v_pk_mul_f32 v[0:1], v[0:1], s[46:47] op_sel_hi:[1,0]
	s_mov_b32 s46, s57
	v_pk_mul_f32 v[12:13], v[2:3], s[56:57] op_sel_hi:[1,0]
	v_pk_mul_f32 v[2:3], v[2:3], s[46:47] op_sel_hi:[1,0]
	v_sub_f32_e32 v10, v10, v1
	v_sub_f32_e32 v14, v12, v3
	v_mov_b32_e32 v1, v2
	v_mov_b32_e32 v12, v11
	v_pk_add_f32 v[0:1], v[12:13], v[0:1]
	s_mov_b32 s46, s59
	v_mov_b32_e32 v11, v0
	v_mov_b32_e32 v15, v1
	s_waitcnt lgkmcnt(1)
	v_pk_mul_f32 v[0:1], v[6:7], s[58:59] op_sel_hi:[1,0]
	v_pk_mul_f32 v[6:7], v[6:7], s[46:47] op_sel_hi:[1,0]
	s_mov_b32 s46, s61
	v_pk_mul_f32 v[2:3], v[8:9], s[60:61] op_sel_hi:[1,0]
	v_pk_mul_f32 v[8:9], v[8:9], s[46:47] op_sel_hi:[1,0]
	ds_write2_b64 v5, v[10:11], v[14:15] offset0:4 offset1:5
	v_sub_f32_e32 v10, v2, v9
	v_sub_f32_e32 v12, v0, v7
	v_mov_b32_e32 v7, v8
	v_mov_b32_e32 v2, v1
	v_pk_add_f32 v[6:7], v[2:3], v[6:7]
	ds_read2_b64 v[0:3], v5 offset0:8 offset1:9
	v_mov_b32_e32 v13, v6
	v_mov_b32_e32 v11, v7
	ds_read2_b64 v[6:9], v5 offset0:10 offset1:11
	s_mov_b32 s46, s63
	s_load_dwordx4 s[48:51], s[2:3], 0xc0
	ds_write2_b64 v5, v[12:13], v[10:11] offset0:6 offset1:7
	s_waitcnt lgkmcnt(0)
	v_pk_mul_f32 v[10:11], v[0:1], s[62:63] op_sel_hi:[1,0]
	v_pk_mul_f32 v[0:1], v[0:1], s[46:47] op_sel_hi:[1,0]
	s_mov_b32 s46, s65
	v_pk_mul_f32 v[12:13], v[2:3], s[64:65] op_sel_hi:[1,0]
	v_pk_mul_f32 v[2:3], v[2:3], s[46:47] op_sel_hi:[1,0]
	v_sub_f32_e32 v10, v10, v1
	v_sub_f32_e32 v14, v12, v3
	v_mov_b32_e32 v1, v2
	v_mov_b32_e32 v12, v11
	v_pk_add_f32 v[0:1], v[12:13], v[0:1]
	s_mov_b32 s2, s67
	v_mov_b32_e32 v11, v0
	v_mov_b32_e32 v15, v1
	v_pk_mul_f32 v[0:1], v[6:7], s[66:67] op_sel_hi:[1,0]
	v_pk_mul_f32 v[2:3], v[8:9], s[48:49] op_sel_hi:[1,0]
	;; [unrolled: 1-line block ×3, first 2 shown]
	v_pk_mul_f32 v[8:9], v[8:9], s[48:49] op_sel:[0,1]
	ds_write2_b64 v5, v[10:11], v[14:15] offset0:8 offset1:9
	v_sub_f32_e32 v10, v2, v9
	v_sub_f32_e32 v0, v0, v7
	v_mov_b32_e32 v7, v8
	ds_read_b64 v[8:9], v5 offset:96
	v_mov_b32_e32 v2, v1
	v_pk_add_f32 v[2:3], v[2:3], v[6:7]
	s_mov_b32 s48, s73
	v_mov_b32_e32 v1, v2
	v_mov_b32_e32 v11, v3
	ds_write2_b64 v5, v[0:1], v[10:11] offset0:10 offset1:11
	s_waitcnt lgkmcnt(1)
	v_mul_f32_e32 v0, s51, v9
	v_mul_f32_e32 v1, s51, v8
	v_fma_f32 v0, v8, s50, -v0
	v_fmac_f32_e32 v1, s50, v9
	ds_write_b64 v5, v[0:1] offset:96
	s_waitcnt lgkmcnt(0)
	; wave barrier
	s_waitcnt lgkmcnt(0)
	ds_read2_b64 v[10:13], v5 offset0:2 offset1:3
	ds_read2_b64 v[0:3], v5 offset1:1
	ds_read2_b64 v[18:21], v5 offset0:4 offset1:5
	ds_read2_b64 v[24:27], v5 offset0:6 offset1:7
	;; [unrolled: 1-line block ×4, first 2 shown]
	ds_read_b64 v[6:7], v5 offset:96
	s_waitcnt lgkmcnt(5)
	v_pk_add_f32 v[8:9], v[0:1], v[2:3]
	s_mov_b32 s46, s27
	v_pk_add_f32 v[8:9], v[8:9], v[10:11]
	s_waitcnt lgkmcnt(1)
	v_pk_add_f32 v[58:59], v[10:11], v[16:17] neg_lo:[0,1] neg_hi:[0,1]
	v_pk_add_f32 v[8:9], v[8:9], v[12:13]
	s_waitcnt lgkmcnt(0)
	v_pk_add_f32 v[54:55], v[2:3], v[6:7] neg_lo:[0,1] neg_hi:[0,1]
	v_pk_add_f32 v[8:9], v[8:9], v[18:19]
	v_pk_add_f32 v[52:53], v[6:7], v[2:3]
	;; [unrolled: 1-line block ×5, first 2 shown]
	v_pk_mul_f32 v[10:11], v[58:59], s[26:27] op_sel_hi:[1,0]
	v_pk_add_f32 v[8:9], v[8:9], v[26:27]
	v_pk_add_f32 v[62:63], v[12:13], v[14:15] neg_lo:[0,1] neg_hi:[0,1]
	v_pk_add_f32 v[8:9], v[8:9], v[28:29]
	v_pk_add_f32 v[60:61], v[14:15], v[12:13]
	;; [unrolled: 1-line block ×3, first 2 shown]
	s_mov_b32 s2, s35
	v_pk_add_f32 v[8:9], v[8:9], v[14:15]
	v_pk_mul_f32 v[14:15], v[62:63], s[34:35] op_sel_hi:[1,0]
	v_pk_add_f32 v[8:9], v[8:9], v[16:17]
	v_pk_fma_f32 v[12:13], v[60:61], s[2:3], v[14:15] op_sel:[0,0,1] op_sel_hi:[1,0,0]
	v_pk_add_f32 v[32:33], v[8:9], v[6:7]
	v_pk_mul_f32 v[6:7], v[54:55], s[72:73] op_sel_hi:[1,0]
	v_pk_fma_f32 v[14:15], v[60:61], s[2:3], v[14:15] op_sel:[0,0,1] op_sel_hi:[1,0,0] neg_lo:[0,0,1] neg_hi:[0,0,1]
	v_pk_fma_f32 v[2:3], v[52:53], s[48:49], v[6:7] op_sel:[0,0,1] op_sel_hi:[1,0,0]
	v_pk_fma_f32 v[6:7], v[52:53], s[48:49], v[6:7] op_sel:[0,0,1] op_sel_hi:[1,0,0] neg_lo:[0,0,1] neg_hi:[0,0,1]
	v_mov_b32_e32 v8, v2
	v_mov_b32_e32 v9, v7
	v_pk_add_f32 v[22:23], v[0:1], v[8:9]
	v_pk_fma_f32 v[8:9], v[56:57], s[46:47], v[10:11] op_sel:[0,0,1] op_sel_hi:[1,0,0]
	v_pk_fma_f32 v[10:11], v[56:57], s[46:47], v[10:11] op_sel:[0,0,1] op_sel_hi:[1,0,0] neg_lo:[0,0,1] neg_hi:[0,0,1]
	v_mov_b32_e32 v16, v8
	v_mov_b32_e32 v17, v11
	v_pk_add_f32 v[66:67], v[18:19], v[30:31] neg_lo:[0,1] neg_hi:[0,1]
	v_pk_add_f32 v[16:17], v[16:17], v[22:23]
	v_mov_b32_e32 v22, v12
	v_mov_b32_e32 v23, v15
	v_pk_add_f32 v[64:65], v[30:31], v[18:19]
	s_mov_b32 s50, s25
	v_pk_mul_f32 v[18:19], v[66:67], s[24:25] op_sel_hi:[1,0]
	v_pk_add_f32 v[22:23], v[22:23], v[16:17]
	v_pk_fma_f32 v[16:17], v[64:65], s[50:51], v[18:19] op_sel:[0,0,1] op_sel_hi:[1,0,0]
	v_pk_fma_f32 v[18:19], v[64:65], s[50:51], v[18:19] op_sel:[0,0,1] op_sel_hi:[1,0,0] neg_lo:[0,0,1] neg_hi:[0,0,1]
	v_mov_b32_e32 v30, v16
	v_mov_b32_e32 v31, v19
	v_pk_add_f32 v[70:71], v[20:21], v[28:29] neg_lo:[0,1] neg_hi:[0,1]
	v_pk_add_f32 v[30:31], v[30:31], v[22:23]
	v_pk_add_f32 v[68:69], v[28:29], v[20:21]
	s_mov_b32 s52, s29
	v_pk_mul_f32 v[22:23], v[70:71], s[28:29] op_sel_hi:[1,0]
	v_pk_add_f32 v[74:75], v[24:25], v[26:27] neg_lo:[0,1] neg_hi:[0,1]
	v_pk_fma_f32 v[20:21], v[68:69], s[52:53], v[22:23] op_sel:[0,0,1] op_sel_hi:[1,0,0]
	v_pk_fma_f32 v[22:23], v[68:69], s[52:53], v[22:23] op_sel:[0,0,1] op_sel_hi:[1,0,0] neg_lo:[0,0,1] neg_hi:[0,0,1]
	v_pk_add_f32 v[72:73], v[26:27], v[24:25]
	s_mov_b32 s54, s31
	v_pk_mul_f32 v[26:27], v[74:75], s[30:31] op_sel_hi:[1,0]
	v_mov_b32_e32 v28, v20
	v_mov_b32_e32 v29, v23
	v_pk_fma_f32 v[24:25], v[72:73], s[54:55], v[26:27] op_sel:[0,0,1] op_sel_hi:[1,0,0]
	v_pk_fma_f32 v[26:27], v[72:73], s[54:55], v[26:27] op_sel:[0,0,1] op_sel_hi:[1,0,0] neg_lo:[0,0,1] neg_hi:[0,0,1]
	v_pk_add_f32 v[28:29], v[28:29], v[30:31]
	v_mov_b32_e32 v30, v24
	v_mov_b32_e32 v31, v27
	v_pk_add_f32 v[28:29], v[30:31], v[28:29]
	v_pk_mul_f32 v[30:31], v[54:55], s[26:27] op_sel_hi:[1,0]
	ds_write2_b64 v5, v[32:33], v[28:29] offset1:1
	v_pk_fma_f32 v[28:29], v[52:53], s[46:47], v[30:31] op_sel:[0,0,1] op_sel_hi:[1,0,0]
	v_pk_fma_f32 v[30:31], v[52:53], s[46:47], v[30:31] op_sel:[0,0,1] op_sel_hi:[1,0,0] neg_lo:[0,0,1] neg_hi:[0,0,1]
	v_mov_b32_e32 v32, v28
	v_mov_b32_e32 v33, v31
	v_pk_mul_f32 v[34:35], v[58:59], s[24:25] op_sel_hi:[1,0]
	v_pk_add_f32 v[36:37], v[0:1], v[32:33]
	v_pk_fma_f32 v[32:33], v[56:57], s[50:51], v[34:35] op_sel:[0,0,1] op_sel_hi:[1,0,0]
	v_pk_fma_f32 v[34:35], v[56:57], s[50:51], v[34:35] op_sel:[0,0,1] op_sel_hi:[1,0,0] neg_lo:[0,0,1] neg_hi:[0,0,1]
	v_mov_b32_e32 v38, v32
	v_mov_b32_e32 v39, v35
	v_pk_add_f32 v[40:41], v[38:39], v[36:37]
	v_pk_mul_f32 v[38:39], v[62:63], s[30:31] op_sel_hi:[1,0]
	v_pk_mul_f32 v[84:85], v[58:59], s[30:31] op_sel_hi:[1,0]
	v_pk_fma_f32 v[36:37], v[60:61], s[54:55], v[38:39] op_sel:[0,0,1] op_sel_hi:[1,0,0]
	v_pk_fma_f32 v[38:39], v[60:61], s[54:55], v[38:39] op_sel:[0,0,1] op_sel_hi:[1,0,0] neg_lo:[0,0,1] neg_hi:[0,0,1]
	v_mov_b32_e32 v42, v36
	v_mov_b32_e32 v43, v39
	v_pk_add_f32 v[44:45], v[42:43], v[40:41]
	v_pk_mul_f32 v[42:43], v[66:67], s[74:75] op_sel_hi:[1,0]
	v_pk_fma_f32 v[86:87], v[56:57], s[54:55], v[84:85] op_sel:[0,0,1] op_sel_hi:[1,0,0]
	v_pk_fma_f32 v[40:41], v[64:65], s[52:53], v[42:43] op_sel:[0,0,1] op_sel_hi:[1,0,0]
	v_pk_fma_f32 v[42:43], v[64:65], s[52:53], v[42:43] op_sel:[0,0,1] op_sel_hi:[1,0,0] neg_lo:[0,0,1] neg_hi:[0,0,1]
	v_mov_b32_e32 v46, v40
	v_mov_b32_e32 v47, v43
	v_pk_add_f32 v[48:49], v[46:47], v[44:45]
	v_pk_mul_f32 v[46:47], v[70:71], s[68:69] op_sel_hi:[1,0]
	v_pk_fma_f32 v[84:85], v[56:57], s[54:55], v[84:85] op_sel:[0,0,1] op_sel_hi:[1,0,0] neg_lo:[0,0,1] neg_hi:[0,0,1]
	v_pk_fma_f32 v[44:45], v[68:69], s[2:3], v[46:47] op_sel:[0,0,1] op_sel_hi:[1,0,0]
	v_pk_fma_f32 v[46:47], v[68:69], s[2:3], v[46:47] op_sel:[0,0,1] op_sel_hi:[1,0,0] neg_lo:[0,0,1] neg_hi:[0,0,1]
	v_mov_b32_e32 v50, v44
	v_mov_b32_e32 v51, v47
	v_pk_add_f32 v[76:77], v[50:51], v[48:49]
	v_pk_mul_f32 v[50:51], v[74:75], s[70:71] op_sel_hi:[1,0]
	v_mov_b32_e32 v88, v86
	v_pk_fma_f32 v[48:49], v[72:73], s[48:49], v[50:51] op_sel:[0,0,1] op_sel_hi:[1,0,0]
	v_pk_fma_f32 v[50:51], v[72:73], s[48:49], v[50:51] op_sel:[0,0,1] op_sel_hi:[1,0,0] neg_lo:[0,0,1] neg_hi:[0,0,1]
	v_mov_b32_e32 v78, v48
	v_mov_b32_e32 v79, v51
	v_pk_add_f32 v[76:77], v[78:79], v[76:77]
	v_pk_mul_f32 v[78:79], v[54:55], s[34:35] op_sel_hi:[1,0]
	v_mov_b32_e32 v89, v85
	v_pk_fma_f32 v[80:81], v[52:53], s[2:3], v[78:79] op_sel:[0,0,1] op_sel_hi:[1,0,0]
	v_pk_fma_f32 v[78:79], v[52:53], s[2:3], v[78:79] op_sel:[0,0,1] op_sel_hi:[1,0,0] neg_lo:[0,0,1] neg_hi:[0,0,1]
	v_mov_b32_e32 v82, v80
	v_mov_b32_e32 v83, v79
	v_pk_add_f32 v[82:83], v[0:1], v[82:83]
	v_pk_mul_f32 v[110:111], v[58:59], s[74:75] op_sel_hi:[1,0]
	v_pk_add_f32 v[82:83], v[88:89], v[82:83]
	v_pk_mul_f32 v[88:89], v[62:63], s[80:81] op_sel_hi:[1,0]
	v_pk_fma_f32 v[112:113], v[56:57], s[52:53], v[110:111] op_sel:[0,0,1] op_sel_hi:[1,0,0]
	v_pk_fma_f32 v[90:91], v[60:61], s[50:51], v[88:89] op_sel:[0,0,1] op_sel_hi:[1,0,0]
	v_pk_fma_f32 v[88:89], v[60:61], s[50:51], v[88:89] op_sel:[0,0,1] op_sel_hi:[1,0,0] neg_lo:[0,0,1] neg_hi:[0,0,1]
	v_mov_b32_e32 v92, v90
	v_mov_b32_e32 v93, v89
	v_pk_add_f32 v[82:83], v[92:93], v[82:83]
	v_pk_mul_f32 v[92:93], v[66:67], s[70:71] op_sel_hi:[1,0]
	v_pk_fma_f32 v[110:111], v[56:57], s[52:53], v[110:111] op_sel:[0,0,1] op_sel_hi:[1,0,0] neg_lo:[0,0,1] neg_hi:[0,0,1]
	v_pk_fma_f32 v[94:95], v[64:65], s[48:49], v[92:93] op_sel:[0,0,1] op_sel_hi:[1,0,0]
	v_pk_fma_f32 v[92:93], v[64:65], s[48:49], v[92:93] op_sel:[0,0,1] op_sel_hi:[1,0,0] neg_lo:[0,0,1] neg_hi:[0,0,1]
	v_mov_b32_e32 v96, v94
	v_mov_b32_e32 v97, v93
	v_pk_add_f32 v[82:83], v[96:97], v[82:83]
	v_pk_mul_f32 v[96:97], v[70:71], s[26:27] op_sel_hi:[1,0]
	v_mov_b32_e32 v114, v112
	v_pk_fma_f32 v[98:99], v[68:69], s[46:47], v[96:97] op_sel:[0,0,1] op_sel_hi:[1,0,0]
	v_pk_fma_f32 v[96:97], v[68:69], s[46:47], v[96:97] op_sel:[0,0,1] op_sel_hi:[1,0,0] neg_lo:[0,0,1] neg_hi:[0,0,1]
	v_mov_b32_e32 v100, v98
	v_mov_b32_e32 v101, v97
	v_pk_add_f32 v[82:83], v[100:101], v[82:83]
	v_pk_mul_f32 v[100:101], v[74:75], s[28:29] op_sel_hi:[1,0]
	v_mov_b32_e32 v115, v111
	v_pk_fma_f32 v[106:107], v[72:73], s[52:53], v[100:101] op_sel:[0,0,1] op_sel_hi:[1,0,0]
	v_pk_fma_f32 v[100:101], v[72:73], s[52:53], v[100:101] op_sel:[0,0,1] op_sel_hi:[1,0,0] neg_lo:[0,0,1] neg_hi:[0,0,1]
	v_mov_b32_e32 v108, v106
	v_mov_b32_e32 v109, v101
	v_pk_add_f32 v[82:83], v[108:109], v[82:83]
	ds_write2_b64 v5, v[76:77], v[82:83] offset0:2 offset1:3
	v_pk_mul_f32 v[76:77], v[54:55], s[24:25] op_sel_hi:[1,0]
	v_pk_mul_f32 v[136:137], v[58:59], s[68:69] op_sel_hi:[1,0]
	v_pk_fma_f32 v[82:83], v[52:53], s[50:51], v[76:77] op_sel:[0,0,1] op_sel_hi:[1,0,0]
	v_pk_fma_f32 v[76:77], v[52:53], s[50:51], v[76:77] op_sel:[0,0,1] op_sel_hi:[1,0,0] neg_lo:[0,0,1] neg_hi:[0,0,1]
	v_mov_b32_e32 v108, v82
	v_mov_b32_e32 v109, v77
	v_pk_add_f32 v[108:109], v[0:1], v[108:109]
	v_pk_fma_f32 v[138:139], v[56:57], s[2:3], v[136:137] op_sel:[0,0,1] op_sel_hi:[1,0,0]
	v_pk_add_f32 v[108:109], v[114:115], v[108:109]
	v_pk_mul_f32 v[114:115], v[62:63], s[70:71] op_sel_hi:[1,0]
	v_pk_fma_f32 v[136:137], v[56:57], s[2:3], v[136:137] op_sel:[0,0,1] op_sel_hi:[1,0,0] neg_lo:[0,0,1] neg_hi:[0,0,1]
	v_pk_fma_f32 v[116:117], v[60:61], s[48:49], v[114:115] op_sel:[0,0,1] op_sel_hi:[1,0,0]
	v_pk_fma_f32 v[114:115], v[60:61], s[48:49], v[114:115] op_sel:[0,0,1] op_sel_hi:[1,0,0] neg_lo:[0,0,1] neg_hi:[0,0,1]
	v_mov_b32_e32 v118, v116
	v_mov_b32_e32 v119, v115
	v_pk_add_f32 v[108:109], v[118:119], v[108:109]
	v_pk_mul_f32 v[118:119], v[66:67], s[34:35] op_sel_hi:[1,0]
	v_mov_b32_e32 v140, v138
	v_pk_fma_f32 v[120:121], v[64:65], s[2:3], v[118:119] op_sel:[0,0,1] op_sel_hi:[1,0,0]
	v_pk_fma_f32 v[118:119], v[64:65], s[2:3], v[118:119] op_sel:[0,0,1] op_sel_hi:[1,0,0] neg_lo:[0,0,1] neg_hi:[0,0,1]
	v_mov_b32_e32 v122, v120
	v_mov_b32_e32 v123, v119
	v_pk_add_f32 v[108:109], v[122:123], v[108:109]
	v_pk_mul_f32 v[122:123], v[70:71], s[78:79] op_sel_hi:[1,0]
	v_mov_b32_e32 v141, v137
	v_pk_fma_f32 v[124:125], v[68:69], s[54:55], v[122:123] op_sel:[0,0,1] op_sel_hi:[1,0,0]
	v_pk_fma_f32 v[122:123], v[68:69], s[54:55], v[122:123] op_sel:[0,0,1] op_sel_hi:[1,0,0] neg_lo:[0,0,1] neg_hi:[0,0,1]
	v_mov_b32_e32 v126, v124
	v_mov_b32_e32 v127, v123
	v_pk_add_f32 v[108:109], v[126:127], v[108:109]
	v_pk_mul_f32 v[126:127], v[74:75], s[76:77] op_sel_hi:[1,0]
	v_mov_b32_e32 v77, v83
	v_pk_fma_f32 v[128:129], v[72:73], s[46:47], v[126:127] op_sel:[0,0,1] op_sel_hi:[1,0,0]
	v_pk_fma_f32 v[126:127], v[72:73], s[46:47], v[126:127] op_sel:[0,0,1] op_sel_hi:[1,0,0] neg_lo:[0,0,1] neg_hi:[0,0,1]
	v_mov_b32_e32 v130, v128
	v_mov_b32_e32 v131, v127
	v_pk_add_f32 v[108:109], v[130:131], v[108:109]
	v_pk_mul_f32 v[130:131], v[54:55], s[28:29] op_sel_hi:[1,0]
	v_pk_mul_f32 v[54:55], v[54:55], s[30:31] op_sel_hi:[1,0]
	v_pk_fma_f32 v[132:133], v[52:53], s[52:53], v[130:131] op_sel:[0,0,1] op_sel_hi:[1,0,0]
	v_pk_fma_f32 v[130:131], v[52:53], s[52:53], v[130:131] op_sel:[0,0,1] op_sel_hi:[1,0,0] neg_lo:[0,0,1] neg_hi:[0,0,1]
	v_mov_b32_e32 v134, v132
	v_mov_b32_e32 v135, v131
	v_pk_add_f32 v[134:135], v[0:1], v[134:135]
	v_mov_b32_e32 v131, v133
	v_pk_add_f32 v[134:135], v[140:141], v[134:135]
	v_pk_mul_f32 v[140:141], v[62:63], s[26:27] op_sel_hi:[1,0]
	v_pk_mul_f32 v[62:63], v[62:63], s[28:29] op_sel_hi:[1,0]
	v_pk_fma_f32 v[142:143], v[60:61], s[46:47], v[140:141] op_sel:[0,0,1] op_sel_hi:[1,0,0]
	v_pk_fma_f32 v[140:141], v[60:61], s[46:47], v[140:141] op_sel:[0,0,1] op_sel_hi:[1,0,0] neg_lo:[0,0,1] neg_hi:[0,0,1]
	v_mov_b32_e32 v144, v142
	v_mov_b32_e32 v145, v141
	v_pk_add_f32 v[134:135], v[144:145], v[134:135]
	v_pk_mul_f32 v[144:145], v[66:67], s[78:79] op_sel_hi:[1,0]
	v_mov_b32_e32 v137, v139
	v_pk_fma_f32 v[146:147], v[64:65], s[54:55], v[144:145] op_sel:[0,0,1] op_sel_hi:[1,0,0]
	v_pk_fma_f32 v[144:145], v[64:65], s[54:55], v[144:145] op_sel:[0,0,1] op_sel_hi:[1,0,0] neg_lo:[0,0,1] neg_hi:[0,0,1]
	v_mov_b32_e32 v148, v146
	v_mov_b32_e32 v149, v145
	v_pk_add_f32 v[134:135], v[148:149], v[134:135]
	v_pk_mul_f32 v[148:149], v[70:71], s[70:71] op_sel_hi:[1,0]
	v_mov_b32_e32 v111, v113
	;; [unrolled: 7-line block ×3, first 2 shown]
	v_pk_fma_f32 v[154:155], v[72:73], s[50:51], v[152:153] op_sel:[0,0,1] op_sel_hi:[1,0,0]
	v_pk_fma_f32 v[152:153], v[72:73], s[50:51], v[152:153] op_sel:[0,0,1] op_sel_hi:[1,0,0] neg_lo:[0,0,1] neg_hi:[0,0,1]
	v_mov_b32_e32 v156, v154
	v_mov_b32_e32 v157, v153
	v_pk_add_f32 v[134:135], v[156:157], v[134:135]
	ds_write2_b64 v5, v[108:109], v[134:135] offset0:4 offset1:5
	v_pk_fma_f32 v[108:109], v[52:53], s[54:55], v[54:55] op_sel:[0,0,1] op_sel_hi:[1,0,0]
	v_pk_fma_f32 v[52:53], v[52:53], s[54:55], v[54:55] op_sel:[0,0,1] op_sel_hi:[1,0,0] neg_lo:[0,0,1] neg_hi:[0,0,1]
	v_pk_mul_f32 v[54:55], v[58:59], s[70:71] op_sel_hi:[1,0]
	v_mov_b32_e32 v115, v117
	v_pk_fma_f32 v[58:59], v[56:57], s[48:49], v[54:55] op_sel:[0,0,1] op_sel_hi:[1,0,0]
	v_pk_fma_f32 v[54:55], v[56:57], s[48:49], v[54:55] op_sel:[0,0,1] op_sel_hi:[1,0,0] neg_lo:[0,0,1] neg_hi:[0,0,1]
	v_mov_b32_e32 v56, v108
	v_mov_b32_e32 v57, v53
	v_pk_add_f32 v[56:57], v[0:1], v[56:57]
	v_mov_b32_e32 v134, v58
	v_mov_b32_e32 v135, v55
	v_pk_add_f32 v[56:57], v[134:135], v[56:57]
	v_pk_fma_f32 v[134:135], v[60:61], s[52:53], v[62:63] op_sel:[0,0,1] op_sel_hi:[1,0,0]
	v_pk_fma_f32 v[60:61], v[60:61], s[52:53], v[62:63] op_sel:[0,0,1] op_sel_hi:[1,0,0] neg_lo:[0,0,1] neg_hi:[0,0,1]
	v_mov_b32_e32 v62, v134
	v_mov_b32_e32 v63, v61
	v_pk_add_f32 v[56:57], v[62:63], v[56:57]
	v_pk_mul_f32 v[62:63], v[66:67], s[76:77] op_sel_hi:[1,0]
	v_mov_b32_e32 v53, v109
	v_pk_fma_f32 v[66:67], v[64:65], s[46:47], v[62:63] op_sel:[0,0,1] op_sel_hi:[1,0,0]
	v_pk_fma_f32 v[62:63], v[64:65], s[46:47], v[62:63] op_sel:[0,0,1] op_sel_hi:[1,0,0] neg_lo:[0,0,1] neg_hi:[0,0,1]
	v_mov_b32_e32 v64, v66
	v_mov_b32_e32 v65, v63
	v_pk_add_f32 v[56:57], v[64:65], v[56:57]
	v_pk_mul_f32 v[64:65], v[70:71], s[24:25] op_sel_hi:[1,0]
	v_mov_b32_e32 v55, v59
	v_pk_fma_f32 v[70:71], v[68:69], s[50:51], v[64:65] op_sel:[0,0,1] op_sel_hi:[1,0,0]
	v_pk_fma_f32 v[64:65], v[68:69], s[50:51], v[64:65] op_sel:[0,0,1] op_sel_hi:[1,0,0] neg_lo:[0,0,1] neg_hi:[0,0,1]
	v_pk_add_f32 v[52:53], v[0:1], v[52:53]
	v_mov_b32_e32 v68, v70
	v_mov_b32_e32 v69, v65
	v_pk_add_f32 v[52:53], v[54:55], v[52:53]
	v_mov_b32_e32 v61, v135
	v_pk_add_f32 v[56:57], v[68:69], v[56:57]
	v_pk_mul_f32 v[68:69], v[74:75], s[68:69] op_sel_hi:[1,0]
	v_pk_add_f32 v[52:53], v[60:61], v[52:53]
	v_mov_b32_e32 v63, v67
	v_pk_fma_f32 v[74:75], v[72:73], s[2:3], v[68:69] op_sel:[0,0,1] op_sel_hi:[1,0,0]
	v_pk_fma_f32 v[68:69], v[72:73], s[2:3], v[68:69] op_sel:[0,0,1] op_sel_hi:[1,0,0] neg_lo:[0,0,1] neg_hi:[0,0,1]
	v_pk_add_f32 v[52:53], v[62:63], v[52:53]
	v_mov_b32_e32 v65, v71
	v_mov_b32_e32 v72, v74
	;; [unrolled: 1-line block ×3, first 2 shown]
	v_pk_add_f32 v[52:53], v[64:65], v[52:53]
	v_mov_b32_e32 v69, v75
	v_pk_add_f32 v[56:57], v[72:73], v[56:57]
	v_pk_add_f32 v[52:53], v[68:69], v[52:53]
	ds_write2_b64 v5, v[56:57], v[52:53] offset0:6 offset1:7
	v_pk_add_f32 v[52:53], v[0:1], v[130:131]
	v_pk_add_f32 v[54:55], v[0:1], v[76:77]
	;; [unrolled: 1-line block ×5, first 2 shown]
	v_mov_b32_e32 v145, v147
	v_pk_add_f32 v[54:55], v[114:115], v[54:55]
	v_mov_b32_e32 v119, v121
	v_pk_add_f32 v[52:53], v[144:145], v[52:53]
	;; [unrolled: 2-line block ×6, first 2 shown]
	v_pk_add_f32 v[54:55], v[126:127], v[54:55]
	v_mov_b32_e32 v79, v81
	v_mov_b32_e32 v31, v29
	;; [unrolled: 1-line block ×3, first 2 shown]
	ds_write2_b64 v5, v[52:53], v[54:55] offset0:8 offset1:9
	v_mov_b32_e32 v85, v87
	v_pk_add_f32 v[52:53], v[0:1], v[78:79]
	v_pk_add_f32 v[28:29], v[0:1], v[30:31]
	v_mov_b32_e32 v35, v33
	v_pk_add_f32 v[0:1], v[0:1], v[6:7]
	v_mov_b32_e32 v11, v9
	;; [unrolled: 2-line block ×14, first 2 shown]
	v_pk_add_f32 v[52:53], v[100:101], v[52:53]
	v_pk_add_f32 v[28:29], v[50:51], v[28:29]
	;; [unrolled: 1-line block ×3, first 2 shown]
	ds_write2_b64 v5, v[52:53], v[28:29] offset0:10 offset1:11
	ds_write_b64 v5, v[0:1] offset:96
	s_waitcnt lgkmcnt(0)
	; wave barrier
	s_waitcnt lgkmcnt(0)
	ds_read2_b64 v[0:3], v5 offset1:1
	v_mov_b32_e32 v54, s0
	v_mov_b32_e32 v55, s1
	v_mad_u64_u32 v[56:57], s[0:1], s22, v4, 0
	v_mov_b32_e32 v8, v57
	v_mad_u64_u32 v[6:7], s[0:1], s23, v4, v[8:9]
	v_mov_b32_e32 v57, v6
	ds_read2_b64 v[6:9], v5 offset0:2 offset1:3
	s_waitcnt lgkmcnt(1)
	v_mul_f32_e32 v4, s5, v1
	v_fmac_f32_e32 v4, s4, v0
	v_mul_f32_e32 v0, s5, v0
	s_mov_b32 s0, 0x13b13b14
	v_fma_f32 v0, s4, v1, -v0
	v_cvt_f64_f32_e32 v[10:11], v4
	s_mov_b32 s1, 0x3fb3b13b
	v_cvt_f64_f32_e32 v[0:1], v0
	v_mul_f32_e32 v4, s7, v3
	v_mul_f64 v[10:11], v[10:11], s[0:1]
	v_mul_f64 v[0:1], v[0:1], s[0:1]
	v_fmac_f32_e32 v4, s6, v2
	v_mul_f32_e32 v2, s7, v2
	v_cvt_f32_f64_e32 v10, v[10:11]
	v_cvt_f32_f64_e32 v11, v[0:1]
	v_lshl_add_u64 v[0:1], v[56:57], 3, v[54:55]
	v_fma_f32 v2, s6, v3, -v2
	global_store_dwordx2 v[0:1], v[10:11], off
	v_cvt_f64_f32_e32 v[10:11], v4
	v_cvt_f64_f32_e32 v[2:3], v2
	v_mul_f64 v[10:11], v[10:11], s[0:1]
	v_mul_f64 v[2:3], v[2:3], s[0:1]
	v_cvt_f32_f64_e32 v10, v[10:11]
	v_cvt_f32_f64_e32 v11, v[2:3]
	v_lshl_add_u64 v[2:3], s[20:21], 3, v[0:1]
	global_store_dwordx2 v[2:3], v[10:11], off
	s_waitcnt lgkmcnt(0)
	v_mul_f32_e32 v2, s9, v7
	v_fmac_f32_e32 v2, s8, v6
	v_cvt_f64_f32_e32 v[2:3], v2
	v_mul_f64 v[2:3], v[2:3], s[0:1]
	v_cvt_f32_f64_e32 v2, v[2:3]
	v_mul_f32_e32 v3, s9, v6
	v_fma_f32 v3, s8, v7, -v3
	v_cvt_f64_f32_e32 v[6:7], v3
	v_mul_f64 v[6:7], v[6:7], s[0:1]
	v_cvt_f32_f64_e32 v3, v[6:7]
	v_lshl_add_u64 v[6:7], s[20:21], 4, v[0:1]
	global_store_dwordx2 v[6:7], v[2:3], off
	v_mul_f32_e32 v2, s11, v9
	v_fmac_f32_e32 v2, s10, v8
	v_cvt_f64_f32_e32 v[2:3], v2
	v_mul_f64 v[2:3], v[2:3], s[0:1]
	v_cvt_f32_f64_e32 v2, v[2:3]
	v_mul_f32_e32 v3, s11, v8
	v_fma_f32 v3, s10, v9, -v3
	v_cvt_f64_f32_e32 v[6:7], v3
	v_mul_f64 v[6:7], v[6:7], s[0:1]
	v_cvt_f32_f64_e32 v3, v[6:7]
	ds_read2_b64 v[6:9], v5 offset0:4 offset1:5
	v_mad_u64_u32 v[10:11], s[2:3], s20, 24, v[0:1]
	v_mov_b32_e32 v4, v11
	v_mad_u64_u32 v[12:13], s[2:3], s21, 24, v[4:5]
	v_mov_b32_e32 v11, v12
	global_store_dwordx2 v[10:11], v[2:3], off
	ds_read2_b64 v[10:13], v5 offset0:6 offset1:7
	s_waitcnt lgkmcnt(1)
	v_mul_f32_e32 v2, s13, v7
	v_fmac_f32_e32 v2, s12, v6
	v_cvt_f64_f32_e32 v[2:3], v2
	v_mul_f64 v[2:3], v[2:3], s[0:1]
	v_cvt_f32_f64_e32 v2, v[2:3]
	v_mul_f32_e32 v3, s13, v6
	v_fma_f32 v3, s12, v7, -v3
	v_cvt_f64_f32_e32 v[6:7], v3
	v_mul_f64 v[6:7], v[6:7], s[0:1]
	s_lshl_b64 s[2:3], s[20:21], 5
	v_cvt_f32_f64_e32 v3, v[6:7]
	v_lshl_add_u64 v[6:7], v[0:1], 0, s[2:3]
	global_store_dwordx2 v[6:7], v[2:3], off
	v_mul_f32_e32 v2, s15, v9
	v_fmac_f32_e32 v2, s14, v8
	v_cvt_f64_f32_e32 v[2:3], v2
	v_mul_f64 v[2:3], v[2:3], s[0:1]
	v_cvt_f32_f64_e32 v2, v[2:3]
	v_mul_f32_e32 v3, s15, v8
	v_fma_f32 v3, s14, v9, -v3
	v_cvt_f64_f32_e32 v[6:7], v3
	v_mul_f64 v[6:7], v[6:7], s[0:1]
	v_cvt_f32_f64_e32 v3, v[6:7]
	v_mad_u64_u32 v[6:7], s[2:3], s20, 40, v[0:1]
	v_mov_b32_e32 v4, v7
	v_mad_u64_u32 v[8:9], s[2:3], s21, 40, v[4:5]
	v_mov_b32_e32 v7, v8
	global_store_dwordx2 v[6:7], v[2:3], off
	s_waitcnt lgkmcnt(0)
	v_mul_f32_e32 v2, s17, v11
	v_fmac_f32_e32 v2, s16, v10
	v_cvt_f64_f32_e32 v[2:3], v2
	v_mul_f64 v[2:3], v[2:3], s[0:1]
	v_cvt_f32_f64_e32 v2, v[2:3]
	v_mul_f32_e32 v3, s17, v10
	v_fma_f32 v3, s16, v11, -v3
	v_cvt_f64_f32_e32 v[6:7], v3
	v_mul_f64 v[6:7], v[6:7], s[0:1]
	v_cvt_f32_f64_e32 v3, v[6:7]
	v_mad_u64_u32 v[6:7], s[2:3], s20, 48, v[0:1]
	v_mov_b32_e32 v4, v7
	v_mad_u64_u32 v[8:9], s[2:3], s21, 48, v[4:5]
	v_mov_b32_e32 v7, v8
	global_store_dwordx2 v[6:7], v[2:3], off
	v_mul_f32_e32 v2, s19, v13
	v_fmac_f32_e32 v2, s18, v12
	v_cvt_f64_f32_e32 v[2:3], v2
	v_mul_f64 v[2:3], v[2:3], s[0:1]
	v_cvt_f32_f64_e32 v2, v[2:3]
	v_mul_f32_e32 v3, s19, v12
	v_fma_f32 v3, s18, v13, -v3
	v_cvt_f64_f32_e32 v[6:7], v3
	v_mul_f64 v[6:7], v[6:7], s[0:1]
	v_cvt_f32_f64_e32 v3, v[6:7]
	ds_read2_b64 v[6:9], v5 offset0:8 offset1:9
	v_mad_u64_u32 v[10:11], s[2:3], s20, 56, v[0:1]
	v_mov_b32_e32 v4, v11
	v_mad_u64_u32 v[12:13], s[2:3], s21, 56, v[4:5]
	v_mov_b32_e32 v11, v12
	global_store_dwordx2 v[10:11], v[2:3], off
	ds_read2_b64 v[10:13], v5 offset0:10 offset1:11
	s_waitcnt lgkmcnt(1)
	v_mul_f32_e32 v2, s37, v7
	v_fmac_f32_e32 v2, s36, v6
	v_cvt_f64_f32_e32 v[2:3], v2
	v_mul_f64 v[2:3], v[2:3], s[0:1]
	v_cvt_f32_f64_e32 v2, v[2:3]
	v_mul_f32_e32 v3, s37, v6
	v_fma_f32 v3, s36, v7, -v3
	v_cvt_f64_f32_e32 v[6:7], v3
	v_mul_f64 v[6:7], v[6:7], s[0:1]
	s_lshl_b64 s[2:3], s[20:21], 6
	v_cvt_f32_f64_e32 v3, v[6:7]
	v_lshl_add_u64 v[6:7], v[0:1], 0, s[2:3]
	global_store_dwordx2 v[6:7], v[2:3], off
	v_mul_f32_e32 v2, s39, v9
	v_fmac_f32_e32 v2, s38, v8
	v_cvt_f64_f32_e32 v[2:3], v2
	v_mul_f64 v[2:3], v[2:3], s[0:1]
	v_cvt_f32_f64_e32 v2, v[2:3]
	v_mul_f32_e32 v3, s39, v8
	v_fma_f32 v3, s38, v9, -v3
	v_cvt_f64_f32_e32 v[6:7], v3
	v_mul_f64 v[6:7], v[6:7], s[0:1]
	v_cvt_f32_f64_e32 v3, v[6:7]
	v_mad_u64_u32 v[6:7], s[2:3], s20, v103, v[0:1]
	s_mul_i32 s2, s21, 0x48
	s_nop 0
	v_add_u32_e32 v7, s2, v7
	global_store_dwordx2 v[6:7], v[2:3], off
	s_waitcnt lgkmcnt(0)
	v_mul_f32_e32 v2, s41, v11
	v_fmac_f32_e32 v2, s40, v10
	v_cvt_f64_f32_e32 v[2:3], v2
	v_mul_f64 v[2:3], v[2:3], s[0:1]
	v_cvt_f32_f64_e32 v2, v[2:3]
	v_mul_f32_e32 v3, s41, v10
	v_fma_f32 v3, s40, v11, -v3
	v_cvt_f64_f32_e32 v[6:7], v3
	v_mul_f64 v[6:7], v[6:7], s[0:1]
	v_cvt_f32_f64_e32 v3, v[6:7]
	v_mad_u64_u32 v[6:7], s[2:3], s20, v105, v[0:1]
	s_mul_i32 s2, s21, 0x50
	s_nop 0
	v_add_u32_e32 v7, s2, v7
	global_store_dwordx2 v[6:7], v[2:3], off
	v_mul_f32_e32 v2, s43, v13
	v_fmac_f32_e32 v2, s42, v12
	v_cvt_f64_f32_e32 v[2:3], v2
	v_mul_f64 v[2:3], v[2:3], s[0:1]
	v_cvt_f32_f64_e32 v2, v[2:3]
	v_mul_f32_e32 v3, s43, v12
	v_fma_f32 v3, s42, v13, -v3
	v_cvt_f64_f32_e32 v[6:7], v3
	ds_read_b64 v[4:5], v5 offset:96
	v_mul_f64 v[6:7], v[6:7], s[0:1]
	v_cvt_f32_f64_e32 v3, v[6:7]
	v_mad_u64_u32 v[6:7], s[2:3], s20, v102, v[0:1]
	s_mul_i32 s2, s21, 0x58
	s_nop 0
	v_add_u32_e32 v7, s2, v7
	global_store_dwordx2 v[6:7], v[2:3], off
	s_waitcnt lgkmcnt(0)
	v_mul_f32_e32 v2, s45, v5
	v_fmac_f32_e32 v2, s44, v4
	v_cvt_f64_f32_e32 v[2:3], v2
	v_mul_f64 v[2:3], v[2:3], s[0:1]
	v_cvt_f32_f64_e32 v2, v[2:3]
	v_mul_f32_e32 v3, s45, v4
	v_fma_f32 v3, s44, v5, -v3
	v_cvt_f64_f32_e32 v[4:5], v3
	v_mul_f64 v[4:5], v[4:5], s[0:1]
	v_mad_u64_u32 v[0:1], s[0:1], s20, v104, v[0:1]
	s_mul_i32 s0, s21, 0x60
	v_cvt_f32_f64_e32 v3, v[4:5]
	v_add_u32_e32 v1, s0, v1
	global_store_dwordx2 v[0:1], v[2:3], off
.LBB0_2:
	s_endpgm
	.section	.rodata,"a",@progbits
	.p2align	6, 0x0
	.amdhsa_kernel bluestein_single_back_len13_dim1_sp_op_CI_CI
		.amdhsa_group_segment_fixed_size 6656
		.amdhsa_private_segment_fixed_size 0
		.amdhsa_kernarg_size 104
		.amdhsa_user_sgpr_count 2
		.amdhsa_user_sgpr_dispatch_ptr 0
		.amdhsa_user_sgpr_queue_ptr 0
		.amdhsa_user_sgpr_kernarg_segment_ptr 1
		.amdhsa_user_sgpr_dispatch_id 0
		.amdhsa_user_sgpr_kernarg_preload_length 0
		.amdhsa_user_sgpr_kernarg_preload_offset 0
		.amdhsa_user_sgpr_private_segment_size 0
		.amdhsa_uses_dynamic_stack 0
		.amdhsa_enable_private_segment 0
		.amdhsa_system_sgpr_workgroup_id_x 1
		.amdhsa_system_sgpr_workgroup_id_y 0
		.amdhsa_system_sgpr_workgroup_id_z 0
		.amdhsa_system_sgpr_workgroup_info 0
		.amdhsa_system_vgpr_workitem_id 0
		.amdhsa_next_free_vgpr 168
		.amdhsa_next_free_sgpr 82
		.amdhsa_accum_offset 168
		.amdhsa_reserve_vcc 1
		.amdhsa_float_round_mode_32 0
		.amdhsa_float_round_mode_16_64 0
		.amdhsa_float_denorm_mode_32 3
		.amdhsa_float_denorm_mode_16_64 3
		.amdhsa_dx10_clamp 1
		.amdhsa_ieee_mode 1
		.amdhsa_fp16_overflow 0
		.amdhsa_tg_split 0
		.amdhsa_exception_fp_ieee_invalid_op 0
		.amdhsa_exception_fp_denorm_src 0
		.amdhsa_exception_fp_ieee_div_zero 0
		.amdhsa_exception_fp_ieee_overflow 0
		.amdhsa_exception_fp_ieee_underflow 0
		.amdhsa_exception_fp_ieee_inexact 0
		.amdhsa_exception_int_div_zero 0
	.end_amdhsa_kernel
	.text
.Lfunc_end0:
	.size	bluestein_single_back_len13_dim1_sp_op_CI_CI, .Lfunc_end0-bluestein_single_back_len13_dim1_sp_op_CI_CI
                                        ; -- End function
	.section	.AMDGPU.csdata,"",@progbits
; Kernel info:
; codeLenInByte = 7756
; NumSgprs: 88
; NumVgprs: 168
; NumAgprs: 0
; TotalNumVgprs: 168
; ScratchSize: 0
; MemoryBound: 0
; FloatMode: 240
; IeeeMode: 1
; LDSByteSize: 6656 bytes/workgroup (compile time only)
; SGPRBlocks: 10
; VGPRBlocks: 20
; NumSGPRsForWavesPerEU: 88
; NumVGPRsForWavesPerEU: 168
; AccumOffset: 168
; Occupancy: 3
; WaveLimiterHint : 1
; COMPUTE_PGM_RSRC2:SCRATCH_EN: 0
; COMPUTE_PGM_RSRC2:USER_SGPR: 2
; COMPUTE_PGM_RSRC2:TRAP_HANDLER: 0
; COMPUTE_PGM_RSRC2:TGID_X_EN: 1
; COMPUTE_PGM_RSRC2:TGID_Y_EN: 0
; COMPUTE_PGM_RSRC2:TGID_Z_EN: 0
; COMPUTE_PGM_RSRC2:TIDIG_COMP_CNT: 0
; COMPUTE_PGM_RSRC3_GFX90A:ACCUM_OFFSET: 41
; COMPUTE_PGM_RSRC3_GFX90A:TG_SPLIT: 0
	.text
	.p2alignl 6, 3212836864
	.fill 256, 4, 3212836864
	.type	__hip_cuid_4be4b43e7d57b082,@object ; @__hip_cuid_4be4b43e7d57b082
	.section	.bss,"aw",@nobits
	.globl	__hip_cuid_4be4b43e7d57b082
__hip_cuid_4be4b43e7d57b082:
	.byte	0                               ; 0x0
	.size	__hip_cuid_4be4b43e7d57b082, 1

	.ident	"AMD clang version 19.0.0git (https://github.com/RadeonOpenCompute/llvm-project roc-6.4.0 25133 c7fe45cf4b819c5991fe208aaa96edf142730f1d)"
	.section	".note.GNU-stack","",@progbits
	.addrsig
	.addrsig_sym __hip_cuid_4be4b43e7d57b082
	.amdgpu_metadata
---
amdhsa.kernels:
  - .agpr_count:     0
    .args:
      - .actual_access:  read_only
        .address_space:  global
        .offset:         0
        .size:           8
        .value_kind:     global_buffer
      - .actual_access:  read_only
        .address_space:  global
        .offset:         8
        .size:           8
        .value_kind:     global_buffer
      - .actual_access:  read_only
        .address_space:  global
        .offset:         16
        .size:           8
        .value_kind:     global_buffer
      - .actual_access:  read_only
        .address_space:  global
        .offset:         24
        .size:           8
        .value_kind:     global_buffer
      - .actual_access:  read_only
        .address_space:  global
        .offset:         32
        .size:           8
        .value_kind:     global_buffer
      - .offset:         40
        .size:           8
        .value_kind:     by_value
      - .address_space:  global
        .offset:         48
        .size:           8
        .value_kind:     global_buffer
      - .address_space:  global
        .offset:         56
        .size:           8
        .value_kind:     global_buffer
      - .address_space:  global
        .offset:         64
        .size:           8
        .value_kind:     global_buffer
      - .address_space:  global
        .offset:         72
        .size:           8
        .value_kind:     global_buffer
      - .offset:         80
        .size:           4
        .value_kind:     by_value
      - .address_space:  global
        .offset:         88
        .size:           8
        .value_kind:     global_buffer
      - .address_space:  global
        .offset:         96
        .size:           8
        .value_kind:     global_buffer
    .group_segment_fixed_size: 6656
    .kernarg_segment_align: 8
    .kernarg_segment_size: 104
    .language:       OpenCL C
    .language_version:
      - 2
      - 0
    .max_flat_workgroup_size: 64
    .name:           bluestein_single_back_len13_dim1_sp_op_CI_CI
    .private_segment_fixed_size: 0
    .sgpr_count:     88
    .sgpr_spill_count: 0
    .symbol:         bluestein_single_back_len13_dim1_sp_op_CI_CI.kd
    .uniform_work_group_size: 1
    .uses_dynamic_stack: false
    .vgpr_count:     168
    .vgpr_spill_count: 0
    .wavefront_size: 64
amdhsa.target:   amdgcn-amd-amdhsa--gfx950
amdhsa.version:
  - 1
  - 2
...

	.end_amdgpu_metadata
